;; amdgpu-corpus repo=ROCm/rocFFT kind=compiled arch=gfx1100 opt=O3
	.text
	.amdgcn_target "amdgcn-amd-amdhsa--gfx1100"
	.amdhsa_code_object_version 6
	.protected	bluestein_single_fwd_len1458_dim1_sp_op_CI_CI ; -- Begin function bluestein_single_fwd_len1458_dim1_sp_op_CI_CI
	.globl	bluestein_single_fwd_len1458_dim1_sp_op_CI_CI
	.p2align	8
	.type	bluestein_single_fwd_len1458_dim1_sp_op_CI_CI,@function
bluestein_single_fwd_len1458_dim1_sp_op_CI_CI: ; @bluestein_single_fwd_len1458_dim1_sp_op_CI_CI
; %bb.0:
	s_load_b128 s[16:19], s[0:1], 0x28
	v_mul_u32_u24_e32 v1, 0x10e, v0
	s_mov_b32 s2, exec_lo
	v_mov_b32_e32 v41, 0
	s_delay_alu instid0(VALU_DEP_2) | instskip(NEXT) | instid1(VALU_DEP_1)
	v_lshrrev_b32_e32 v1, 16, v1
	v_add_nc_u32_e32 v40, s15, v1
	s_waitcnt lgkmcnt(0)
	s_delay_alu instid0(VALU_DEP_1)
	v_cmpx_gt_u64_e64 s[16:17], v[40:41]
	s_cbranch_execz .LBB0_2
; %bb.1:
	s_clause 0x1
	s_load_b128 s[4:7], s[0:1], 0x18
	s_load_b128 s[8:11], s[0:1], 0x0
	v_mul_lo_u16 v1, 0xf3, v1
	s_load_b64 s[0:1], s[0:1], 0x38
	s_delay_alu instid0(VALU_DEP_1) | instskip(NEXT) | instid1(VALU_DEP_1)
	v_sub_nc_u16 v32, v0, v1
	v_and_b32_e32 v55, 0xffff, v32
	v_and_b32_e32 v22, 0xff, v32
	s_delay_alu instid0(VALU_DEP_1) | instskip(SKIP_2) | instid1(VALU_DEP_1)
	v_mul_lo_u16 v16, 0xab, v22
	s_waitcnt lgkmcnt(0)
	s_load_b128 s[12:15], s[4:5], 0x0
	v_lshrrev_b16 v16, 10, v16
	s_waitcnt lgkmcnt(0)
	v_mad_u64_u32 v[0:1], null, s14, v40, 0
	v_mad_u64_u32 v[2:3], null, s12, v55, 0
	s_mul_hi_u32 s3, s12, 0x798
	s_mul_i32 s4, s12, 0x798
	s_delay_alu instid0(VALU_DEP_1) | instskip(NEXT) | instid1(VALU_DEP_1)
	v_mad_u64_u32 v[4:5], null, s15, v40, v[1:2]
	v_dual_mov_b32 v1, v4 :: v_dual_lshlrev_b32 v56, 3, v55
	s_delay_alu instid0(VALU_DEP_3) | instskip(NEXT) | instid1(VALU_DEP_2)
	v_mad_u64_u32 v[5:6], null, s13, v55, v[3:4]
	v_add_co_u32 v59, s2, s8, v56
	s_delay_alu instid0(VALU_DEP_1) | instskip(NEXT) | instid1(VALU_DEP_4)
	v_add_co_ci_u32_e64 v60, null, s9, 0, s2
	v_lshlrev_b64 v[0:1], 3, v[0:1]
	s_delay_alu instid0(VALU_DEP_3) | instskip(SKIP_1) | instid1(VALU_DEP_4)
	v_add_co_u32 v6, vcc_lo, 0x1000, v59
	v_mov_b32_e32 v3, v5
	v_add_co_ci_u32_e32 v7, vcc_lo, 0, v60, vcc_lo
	v_add_co_u32 v53, vcc_lo, 0x2000, v59
	v_add_co_ci_u32_e32 v54, vcc_lo, 0, v60, vcc_lo
	s_delay_alu instid0(VALU_DEP_4) | instskip(SKIP_3) | instid1(VALU_DEP_2)
	v_lshlrev_b64 v[2:3], 3, v[2:3]
	v_add_co_u32 v0, vcc_lo, s18, v0
	v_add_co_ci_u32_e32 v1, vcc_lo, s19, v1, vcc_lo
	s_mul_i32 s2, s13, 0x798
	v_add_co_u32 v0, vcc_lo, v0, v2
	s_delay_alu instid0(VALU_DEP_2) | instskip(SKIP_1) | instid1(VALU_DEP_2)
	v_add_co_ci_u32_e32 v1, vcc_lo, v1, v3, vcc_lo
	s_add_i32 s3, s3, s2
	v_add_co_u32 v2, vcc_lo, v0, s4
	s_delay_alu instid0(VALU_DEP_2)
	v_add_co_ci_u32_e32 v3, vcc_lo, s3, v1, vcc_lo
	s_clause 0x2
	global_load_b64 v[41:42], v56, s[8:9]
	global_load_b64 v[43:44], v56, s[8:9] offset:1944
	global_load_b64 v[45:46], v56, s[8:9] offset:3888
	global_load_b64 v[0:1], v[0:1], off
	v_add_co_u32 v4, vcc_lo, v2, s4
	v_add_co_ci_u32_e32 v5, vcc_lo, s3, v3, vcc_lo
	global_load_b64 v[47:48], v[6:7], off offset:1736
	v_add_co_u32 v8, vcc_lo, v4, s4
	v_add_co_ci_u32_e32 v9, vcc_lo, s3, v5, vcc_lo
	s_clause 0x1
	global_load_b64 v[2:3], v[2:3], off
	global_load_b64 v[4:5], v[4:5], off
	v_add_co_u32 v10, vcc_lo, v8, s4
	v_add_co_ci_u32_e32 v11, vcc_lo, s3, v9, vcc_lo
	global_load_b64 v[8:9], v[8:9], off
	v_add_co_u32 v12, vcc_lo, v10, s4
	v_add_co_ci_u32_e32 v13, vcc_lo, s3, v11, vcc_lo
	global_load_b64 v[49:50], v[6:7], off offset:3680
	global_load_b64 v[6:7], v[10:11], off
	global_load_b64 v[51:52], v[53:54], off offset:1528
	global_load_b64 v[10:11], v[12:13], off
	v_add_nc_u32_e32 v58, 0xf00, v56
	s_load_b128 s[4:7], s[6:7], 0x0
	v_cmp_gt_u16_e32 vcc_lo, 0xa2, v32
	s_waitcnt vmcnt(8)
	v_dual_mul_f32 v12, v1, v42 :: v_dual_add_nc_u32 v57, 0x1e00, v56
	v_add_co_u32 v33, null, 0xf3, v55
	v_mul_f32_e32 v14, v0, v42
	s_delay_alu instid0(VALU_DEP_3) | instskip(NEXT) | instid1(VALU_DEP_3)
	v_fmac_f32_e32 v12, v0, v41
	v_and_b32_e32 v24, 0xffff, v33
	s_waitcnt vmcnt(5)
	v_dual_mul_f32 v0, v3, v44 :: v_dual_mul_f32 v15, v4, v46
	s_delay_alu instid0(VALU_DEP_2) | instskip(NEXT) | instid1(VALU_DEP_2)
	v_mul_u32_u24_e32 v13, 0xaaab, v24
	v_fmac_f32_e32 v0, v2, v43
	s_delay_alu instid0(VALU_DEP_3) | instskip(NEXT) | instid1(VALU_DEP_3)
	v_fma_f32 v15, v5, v45, -v15
	v_lshrrev_b32_e32 v17, 18, v13
	v_fma_f32 v13, v1, v41, -v14
	v_dual_mul_f32 v1, v2, v44 :: v_dual_mul_f32 v14, v5, v46
	s_waitcnt vmcnt(2)
	v_dual_mul_f32 v2, v9, v48 :: v_dual_mul_f32 v5, v6, v50
	s_waitcnt vmcnt(0)
	v_mul_f32_e32 v18, v10, v52
	v_fma_f32 v1, v3, v43, -v1
	v_mul_f32_e32 v3, v8, v48
	v_fmac_f32_e32 v14, v4, v45
	v_fmac_f32_e32 v2, v8, v47
	v_mul_f32_e32 v4, v7, v50
	v_mul_f32_e32 v8, v11, v52
	v_fma_f32 v3, v9, v47, -v3
	v_fma_f32 v5, v7, v49, -v5
	v_fma_f32 v9, v11, v51, -v18
	v_fmac_f32_e32 v4, v6, v49
	v_fmac_f32_e32 v8, v10, v51
	ds_store_2addr_b64 v56, v[12:13], v[0:1] offset1:243
	ds_store_2addr_b64 v58, v[14:15], v[2:3] offset0:6 offset1:249
	ds_store_2addr_b64 v57, v[4:5], v[8:9] offset0:12 offset1:255
	s_waitcnt lgkmcnt(0)
	s_barrier
	buffer_gl0_inv
	ds_load_2addr_b64 v[0:3], v56 offset1:243
	ds_load_2addr_b64 v[4:7], v58 offset0:6 offset1:249
	ds_load_2addr_b64 v[8:11], v57 offset0:12 offset1:255
	v_mul_lo_u16 v18, v17, 6
	v_mul_lo_u16 v12, v16, 6
	;; [unrolled: 1-line block ×3, first 2 shown]
	s_waitcnt lgkmcnt(0)
	s_barrier
	v_sub_nc_u16 v13, v33, v18
	v_sub_nc_u16 v12, v32, v12
	buffer_gl0_inv
	v_and_b32_e32 v16, 0xffff, v16
	v_lshlrev_b16 v15, 1, v13
	v_mad_u16 v17, v17, 18, v13
	s_delay_alu instid0(VALU_DEP_3) | instskip(NEXT) | instid1(VALU_DEP_2)
	v_mul_u32_u24_e32 v16, 18, v16
	v_and_b32_e32 v17, 0xffff, v17
	v_add_f32_e32 v21, v1, v5
	v_dual_add_f32 v19, v4, v8 :: v_dual_sub_f32 v20, v5, v9
	v_add_f32_e32 v5, v5, v9
	v_dual_add_f32 v23, v2, v6 :: v_dual_and_b32 v18, 0xff, v12
	v_sub_f32_e32 v26, v7, v11
	v_add_f32_e32 v27, v3, v7
	v_add_f32_e32 v7, v7, v11
	v_dual_add_f32 v9, v21, v9 :: v_dual_and_b32 v12, 0xffff, v15
	v_dual_add_f32 v15, v0, v4 :: v_dual_and_b32 v14, 0xffff, v14
	s_delay_alu instid0(VALU_DEP_3)
	v_fmac_f32_e32 v3, -0.5, v7
	v_add_f32_e32 v25, v6, v10
	v_sub_f32_e32 v6, v6, v10
	v_sub_f32_e32 v4, v4, v8
	v_add_f32_e32 v8, v15, v8
	v_fma_f32 v15, -0.5, v19, v0
	v_fma_f32 v19, -0.5, v5, v1
	v_add_f32_e32 v5, v23, v10
	v_add_f32_e32 v10, v27, v11
	v_fma_f32 v2, -0.5, v25, v2
	v_fmamk_f32 v7, v6, 0xbf5db3d7, v3
	v_lshlrev_b32_e32 v61, 3, v14
	v_dual_fmamk_f32 v11, v20, 0x3f5db3d7, v15 :: v_dual_lshlrev_b32 v14, 4, v18
	v_dual_add_f32 v1, v9, v10 :: v_dual_lshlrev_b32 v12, 3, v12
	v_fmac_f32_e32 v15, 0xbf5db3d7, v20
	v_mul_f32_e32 v21, 0x3f5db3d7, v7
	v_fmac_f32_e32 v3, 0x3f5db3d7, v6
	v_fmamk_f32 v20, v4, 0xbf5db3d7, v19
	v_dual_fmac_f32 v19, 0x3f5db3d7, v4 :: v_dual_fmamk_f32 v4, v26, 0x3f5db3d7, v2
	v_fmac_f32_e32 v2, 0xbf5db3d7, v26
	v_add_lshl_u32 v63, v16, v18, 3
	s_delay_alu instid0(VALU_DEP_2) | instskip(NEXT) | instid1(VALU_DEP_1)
	v_mul_f32_e32 v23, -0.5, v2
	v_fmac_f32_e32 v23, 0x3f5db3d7, v3
	v_fmac_f32_e32 v21, 0.5, v4
	v_dual_mul_f32 v25, 0xbf5db3d7, v4 :: v_dual_add_f32 v0, v8, v5
	s_delay_alu instid0(VALU_DEP_3) | instskip(NEXT) | instid1(VALU_DEP_2)
	v_add_f32_e32 v4, v15, v23
	v_fmac_f32_e32 v25, 0.5, v7
	v_dual_sub_f32 v7, v9, v10 :: v_dual_mul_f32 v26, -0.5, v3
	s_delay_alu instid0(VALU_DEP_2) | instskip(NEXT) | instid1(VALU_DEP_2)
	v_dual_sub_f32 v10, v15, v23 :: v_dual_add_f32 v3, v20, v25
	v_dual_sub_f32 v9, v20, v25 :: v_dual_fmac_f32 v26, 0xbf5db3d7, v2
	v_add_f32_e32 v2, v11, v21
	v_sub_f32_e32 v6, v8, v5
	v_sub_f32_e32 v8, v11, v21
	s_delay_alu instid0(VALU_DEP_4)
	v_add_f32_e32 v5, v19, v26
	v_sub_f32_e32 v11, v19, v26
	ds_store_b128 v61, v[0:3]
	ds_store_b128 v61, v[4:7] offset:16
	ds_store_b128 v61, v[8:11] offset:32
	s_waitcnt lgkmcnt(0)
	s_barrier
	buffer_gl0_inv
	s_clause 0x1
	global_load_b128 v[4:7], v14, s[10:11]
	global_load_b128 v[0:3], v12, s[10:11]
	v_mul_lo_u16 v8, v22, 57
	v_mul_u32_u24_e32 v9, 0xe38f, v24
	ds_load_2addr_b64 v[12:15], v57 offset0:12 offset1:255
	v_lshlrev_b32_e32 v62, 3, v17
	v_mul_u32_u24_e32 v24, 0x6523, v24
	v_lshrrev_b16 v23, 10, v8
	v_lshrrev_b32_e32 v25, 20, v9
	s_delay_alu instid0(VALU_DEP_3) | instskip(NEXT) | instid1(VALU_DEP_3)
	v_lshrrev_b32_e32 v74, 22, v24
	v_mul_lo_u16 v8, v23, 18
	s_delay_alu instid0(VALU_DEP_3) | instskip(NEXT) | instid1(VALU_DEP_3)
	v_mul_lo_u16 v9, v25, 18
	v_mul_lo_u16 v24, 0xa2, v74
	s_delay_alu instid0(VALU_DEP_3) | instskip(NEXT) | instid1(VALU_DEP_3)
	v_sub_nc_u16 v19, v32, v8
	v_sub_nc_u16 v26, v33, v9
	ds_load_2addr_b64 v[8:11], v58 offset0:6 offset1:249
	v_sub_nc_u16 v75, v33, v24
	v_and_b32_e32 v27, 0xff, v19
	v_lshlrev_b16 v20, 4, v26
	ds_load_2addr_b64 v[16:19], v56 offset1:243
	s_waitcnt vmcnt(0) lgkmcnt(0)
	s_barrier
	buffer_gl0_inv
	v_and_b32_e32 v20, 0xffff, v20
	v_mad_u16 v25, v25, 54, v26
	v_mul_f32_e32 v31, v13, v7
	v_dual_mul_f32 v35, v11, v1 :: v_dual_mul_f32 v38, v14, v3
	v_mul_f32_e32 v37, v15, v3
	v_mul_f32_e32 v29, v9, v5
	v_add_co_u32 v20, s2, s10, v20
	s_delay_alu instid0(VALU_DEP_4)
	v_fmac_f32_e32 v38, v15, v2
	v_mul_f32_e32 v36, v10, v1
	v_fma_f32 v10, v10, v0, -v35
	v_mul_f32_e32 v30, v8, v5
	v_mul_f32_e32 v34, v12, v7
	v_fma_f32 v8, v8, v4, -v29
	v_fmac_f32_e32 v36, v11, v0
	v_lshlrev_b32_e32 v28, 4, v27
	v_fmac_f32_e32 v30, v9, v4
	v_fma_f32 v9, v12, v6, -v31
	v_fma_f32 v12, v14, v2, -v37
	v_sub_f32_e32 v37, v36, v38
	v_add_f32_e32 v11, v16, v8
	v_dual_add_f32 v39, v19, v36 :: v_dual_add_f32 v14, v17, v30
	s_delay_alu instid0(VALU_DEP_4) | instskip(SKIP_3) | instid1(VALU_DEP_4)
	v_dual_add_f32 v35, v10, v12 :: v_dual_fmac_f32 v34, v13, v6
	v_add_f32_e32 v13, v8, v9
	v_add_f32_e32 v31, v18, v10
	v_add_co_ci_u32_e64 v21, null, s11, 0, s2
	v_add_f32_e32 v29, v30, v34
	v_dual_sub_f32 v15, v30, v34 :: v_dual_sub_f32 v30, v8, v9
	v_dual_add_f32 v8, v11, v9 :: v_dual_add_f32 v9, v14, v34
	s_delay_alu instid0(VALU_DEP_3) | instskip(SKIP_3) | instid1(VALU_DEP_2)
	v_fma_f32 v11, -0.5, v29, v17
	v_sub_f32_e32 v64, v10, v12
	v_fma_f32 v10, -0.5, v13, v16
	v_fma_f32 v18, -0.5, v35, v18
	v_fmamk_f32 v14, v15, 0x3f5db3d7, v10
	v_dual_fmac_f32 v10, 0xbf5db3d7, v15 :: v_dual_fmamk_f32 v15, v30, 0xbf5db3d7, v11
	v_fmac_f32_e32 v11, 0x3f5db3d7, v30
	v_add_f32_e32 v36, v36, v38
	v_fmamk_f32 v16, v37, 0x3f5db3d7, v18
	s_delay_alu instid0(VALU_DEP_2) | instskip(SKIP_2) | instid1(VALU_DEP_3)
	v_dual_fmac_f32 v18, 0xbf5db3d7, v37 :: v_dual_fmac_f32 v19, -0.5, v36
	v_add_f32_e32 v12, v31, v12
	v_add_f32_e32 v13, v39, v38
	v_fmamk_f32 v17, v64, 0xbf5db3d7, v19
	v_fmac_f32_e32 v19, 0x3f5db3d7, v64
	ds_store_2addr_b64 v63, v[8:9], v[14:15] offset1:6
	ds_store_b64 v63, v[10:11] offset:96
	ds_store_2addr_b64 v62, v[12:13], v[16:17] offset1:6
	ds_store_b64 v62, v[18:19] offset:96
	s_waitcnt lgkmcnt(0)
	s_barrier
	buffer_gl0_inv
	s_clause 0x1
	global_load_b128 v[12:15], v28, s[10:11] offset:96
	global_load_b128 v[8:11], v[20:21], off offset:96
	v_mul_lo_u16 v17, v22, 19
	v_and_b32_e32 v28, 0xffff, v23
	ds_load_2addr_b64 v[20:23], v57 offset0:12 offset1:255
	v_lshrrev_b16 v16, 1, v33
	v_and_b32_e32 v25, 0xffff, v25
	v_lshrrev_b16 v31, 10, v17
	s_waitcnt vmcnt(1) lgkmcnt(0)
	s_delay_alu instid0(VALU_DEP_3) | instskip(SKIP_2) | instid1(VALU_DEP_2)
	v_dual_mul_f32 v67, v20, v15 :: v_dual_and_b32 v16, 0xffff, v16
	s_waitcnt vmcnt(0)
	v_mul_f32_e32 v71, v22, v11
	v_mul_u32_u24_e32 v16, 0x97b5, v16
	v_mul_f32_e32 v70, v23, v11
	v_dual_fmac_f32 v67, v21, v14 :: v_dual_lshlrev_b32 v64, 3, v25
	s_delay_alu instid0(VALU_DEP_4) | instskip(NEXT) | instid1(VALU_DEP_4)
	v_fmac_f32_e32 v71, v23, v10
	v_lshrrev_b32_e32 v36, 20, v16
	v_mul_lo_u16 v16, v31, 54
	v_mul_u32_u24_e32 v26, 54, v28
	v_mul_f32_e32 v39, v21, v15
	s_delay_alu instid0(VALU_DEP_4) | instskip(NEXT) | instid1(VALU_DEP_4)
	v_mul_lo_u16 v17, v36, 54
	v_sub_nc_u16 v29, v32, v16
	s_delay_alu instid0(VALU_DEP_4) | instskip(NEXT) | instid1(VALU_DEP_3)
	v_add_lshl_u32 v65, v26, v27, 3
	v_sub_nc_u16 v37, v33, v17
	ds_load_2addr_b64 v[16:19], v58 offset0:6 offset1:249
	v_lshlrev_b16 v28, 4, v37
	v_mad_u16 v36, 0xa2, v36, v37
	s_waitcnt lgkmcnt(0)
	v_mul_f32_e32 v69, v18, v9
	v_and_b32_e32 v66, 0xff, v29
	v_dual_mul_f32 v38, v16, v13 :: v_dual_and_b32 v29, 0xffff, v28
	ds_load_2addr_b64 v[25:28], v56 offset1:243
	v_mul_f32_e32 v35, v17, v13
	v_fmac_f32_e32 v69, v19, v8
	v_add_co_u32 v29, s2, s10, v29
	s_delay_alu instid0(VALU_DEP_1) | instskip(NEXT) | instid1(VALU_DEP_4)
	v_add_co_ci_u32_e64 v30, null, s11, 0, s2
	v_fma_f32 v16, v16, v12, -v35
	v_fmac_f32_e32 v38, v17, v12
	v_fma_f32 v17, v20, v14, -v39
	v_fma_f32 v20, v22, v10, -v70
	v_lshlrev_b32_e32 v34, 4, v66
	s_waitcnt lgkmcnt(0)
	s_barrier
	v_add_f32_e32 v21, v16, v17
	v_dual_mul_f32 v68, v19, v9 :: v_dual_sub_f32 v23, v38, v67
	v_add_f32_e32 v35, v38, v67
	buffer_gl0_inv
	v_fma_f32 v18, v18, v8, -v68
	v_dual_add_f32 v19, v25, v16 :: v_dual_add_f32 v22, v26, v38
	v_sub_f32_e32 v70, v69, v71
	s_delay_alu instid0(VALU_DEP_3)
	v_dual_add_f32 v72, v28, v69 :: v_dual_add_f32 v39, v27, v18
	v_dual_add_f32 v68, v18, v20 :: v_dual_add_f32 v69, v69, v71
	v_dual_sub_f32 v38, v16, v17 :: v_dual_sub_f32 v73, v18, v20
	v_add_f32_e32 v16, v19, v17
	v_fma_f32 v18, -0.5, v21, v25
	v_fma_f32 v19, -0.5, v35, v26
	;; [unrolled: 1-line block ×3, first 2 shown]
	v_dual_fmac_f32 v28, -0.5, v69 :: v_dual_add_f32 v17, v22, v67
	v_add_f32_e32 v20, v39, v20
	s_delay_alu instid0(VALU_DEP_3)
	v_dual_fmamk_f32 v22, v23, 0x3f5db3d7, v18 :: v_dual_fmamk_f32 v25, v70, 0x3f5db3d7, v27
	v_dual_fmac_f32 v18, 0xbf5db3d7, v23 :: v_dual_fmac_f32 v27, 0xbf5db3d7, v70
	v_fmamk_f32 v23, v38, 0xbf5db3d7, v19
	v_fmac_f32_e32 v19, 0x3f5db3d7, v38
	v_dual_add_f32 v21, v72, v71 :: v_dual_fmamk_f32 v26, v73, 0xbf5db3d7, v28
	v_fmac_f32_e32 v28, 0x3f5db3d7, v73
	ds_store_2addr_b64 v65, v[16:17], v[22:23] offset1:18
	ds_store_b64 v65, v[18:19] offset:288
	ds_store_2addr_b64 v64, v[20:21], v[25:26] offset1:18
	ds_store_b64 v64, v[27:28] offset:288
	s_waitcnt lgkmcnt(0)
	s_barrier
	buffer_gl0_inv
	s_clause 0x1
	global_load_b128 v[20:23], v34, s[10:11] offset:384
	global_load_b128 v[16:19], v[29:30], off offset:384
	v_add_co_u32 v25, s2, 0xffffff5e, v55
	s_delay_alu instid0(VALU_DEP_1) | instskip(SKIP_1) | instid1(VALU_DEP_3)
	v_add_co_ci_u32_e64 v26, null, 0, -1, s2
	v_lshlrev_b16 v68, 4, v75
	v_cndmask_b32_e32 v38, v25, v55, vcc_lo
	s_delay_alu instid0(VALU_DEP_3)
	v_cndmask_b32_e64 v39, v26, 0, vcc_lo
	ds_load_2addr_b64 v[24:27], v58 offset0:6 offset1:249
	v_and_b32_e32 v37, 0xffff, v68
	v_and_b32_e32 v67, 0xffff, v31
	ds_load_2addr_b64 v[28:31], v57 offset0:12 offset1:255
	v_lshlrev_b64 v[34:35], 4, v[38:39]
	v_add_co_u32 v70, s2, s10, v37
	s_delay_alu instid0(VALU_DEP_1) | instskip(NEXT) | instid1(VALU_DEP_3)
	v_add_co_ci_u32_e64 v71, null, s11, 0, s2
	v_add_co_u32 v68, vcc_lo, s10, v34
	s_delay_alu instid0(VALU_DEP_4)
	v_add_co_ci_u32_e32 v69, vcc_lo, s11, v35, vcc_lo
	v_cmp_lt_u16_e32 vcc_lo, 0xa1, v32
	s_mov_b32 s2, 0xe0bf08c7
	s_mov_b32 s3, 0x3f467980
	v_cndmask_b32_e64 v32, 0, 0x1e6, vcc_lo
	s_waitcnt vmcnt(1) lgkmcnt(1)
	v_mul_f32_e32 v72, v24, v21
	v_mul_u32_u24_e32 v39, 0xa2, v67
	s_waitcnt lgkmcnt(0)
	v_mul_f32_e32 v73, v29, v23
	s_waitcnt vmcnt(0)
	v_dual_mul_f32 v76, v28, v23 :: v_dual_mul_f32 v77, v27, v17
	v_dual_mul_f32 v78, v26, v17 :: v_dual_mul_f32 v79, v31, v19
	v_add_lshl_u32 v67, v39, v66, 3
	v_and_b32_e32 v39, 0xffff, v36
	ds_load_2addr_b64 v[34:37], v56 offset1:243
	v_fma_f32 v26, v26, v16, -v77
	v_fmac_f32_e32 v72, v25, v20
	v_fmac_f32_e32 v78, v27, v16
	v_dual_mul_f32 v39, v25, v21 :: v_dual_lshlrev_b32 v66, 3, v39
	v_fma_f32 v25, v28, v22, -v73
	v_fma_f32 v28, v30, v18, -v79
	s_waitcnt lgkmcnt(0)
	s_barrier
	v_fma_f32 v24, v24, v20, -v39
	v_fmac_f32_e32 v76, v29, v22
	v_mul_f32_e32 v80, v30, v19
	v_add_f32_e32 v77, v26, v28
	s_delay_alu instid0(VALU_DEP_4)
	v_dual_sub_f32 v82, v26, v28 :: v_dual_add_f32 v29, v24, v25
	buffer_gl0_inv
	v_add_f32_e32 v27, v34, v24
	v_add_f32_e32 v73, v36, v26
	v_dual_add_f32 v39, v72, v76 :: v_dual_fmac_f32 v80, v31, v18
	v_sub_f32_e32 v31, v72, v76
	v_add_f32_e32 v30, v35, v72
	v_sub_f32_e32 v72, v24, v25
	v_add_f32_e32 v24, v27, v25
	v_fma_f32 v26, -0.5, v29, v34
	v_fma_f32 v27, -0.5, v39, v35
	v_add_f32_e32 v25, v30, v76
	v_mad_u16 v39, 0x1e6, v74, v75
	v_fma_f32 v36, -0.5, v77, v36
	v_fmamk_f32 v30, v31, 0x3f5db3d7, v26
	v_dual_fmac_f32 v26, 0xbf5db3d7, v31 :: v_dual_fmamk_f32 v31, v72, 0xbf5db3d7, v27
	v_sub_f32_e32 v79, v78, v80
	v_dual_add_f32 v81, v37, v78 :: v_dual_add_f32 v78, v78, v80
	v_and_b32_e32 v39, 0xffff, v39
	v_fmac_f32_e32 v27, 0x3f5db3d7, v72
	s_delay_alu instid0(VALU_DEP_3) | instskip(NEXT) | instid1(VALU_DEP_4)
	v_dual_fmac_f32 v37, -0.5, v78 :: v_dual_add_f32 v28, v73, v28
	v_dual_add_f32 v29, v81, v80 :: v_dual_lshlrev_b32 v78, 4, v55
	v_fmamk_f32 v34, v79, 0x3f5db3d7, v36
	s_delay_alu instid0(VALU_DEP_3)
	v_dual_fmamk_f32 v35, v82, 0xbf5db3d7, v37 :: v_dual_fmac_f32 v36, 0xbf5db3d7, v79
	v_fmac_f32_e32 v37, 0x3f5db3d7, v82
	v_lshlrev_b32_e32 v79, 4, v33
	ds_store_2addr_b64 v67, v[24:25], v[30:31] offset1:54
	ds_store_b64 v67, v[26:27] offset:864
	ds_store_2addr_b64 v66, v[28:29], v[34:35] offset1:54
	ds_store_b64 v66, v[36:37] offset:864
	s_waitcnt lgkmcnt(0)
	s_barrier
	buffer_gl0_inv
	s_clause 0x1
	global_load_b128 v[28:31], v[68:69], off offset:1248
	global_load_b128 v[24:27], v[70:71], off offset:1248
	ds_load_2addr_b64 v[34:37], v58 offset0:6 offset1:249
	ds_load_2addr_b64 v[70:73], v57 offset0:12 offset1:255
	ds_load_2addr_b64 v[74:77], v56 offset1:243
	v_add_lshl_u32 v69, v38, v32, 3
	s_waitcnt vmcnt(0) lgkmcnt(0)
	s_barrier
	buffer_gl0_inv
	v_mul_f32_e32 v33, v34, v29
	v_mul_f32_e32 v32, v35, v29
	v_lshlrev_b32_e32 v68, 3, v39
	v_dual_mul_f32 v38, v71, v31 :: v_dual_mul_f32 v81, v36, v25
	v_dual_mul_f32 v39, v70, v31 :: v_dual_mul_f32 v80, v37, v25
	v_dual_mul_f32 v82, v73, v27 :: v_dual_fmac_f32 v33, v35, v28
	v_fma_f32 v32, v34, v28, -v32
	s_delay_alu instid0(VALU_DEP_4) | instskip(NEXT) | instid1(VALU_DEP_4)
	v_fma_f32 v34, v70, v30, -v38
	v_fma_f32 v35, v36, v24, -v80
	s_delay_alu instid0(VALU_DEP_4) | instskip(SKIP_4) | instid1(VALU_DEP_3)
	v_fma_f32 v36, v72, v26, -v82
	v_mul_f32_e32 v83, v72, v27
	v_fmac_f32_e32 v39, v71, v30
	v_dual_fmac_f32 v81, v37, v24 :: v_dual_add_f32 v38, v32, v34
	v_dual_add_f32 v80, v76, v35 :: v_dual_add_f32 v37, v74, v32
	v_sub_f32_e32 v70, v33, v39
	v_dual_add_f32 v82, v35, v36 :: v_dual_fmac_f32 v83, v73, v26
	v_sub_f32_e32 v86, v35, v36
	v_dual_add_f32 v71, v75, v33 :: v_dual_add_f32 v72, v33, v39
	s_delay_alu instid0(VALU_DEP_3) | instskip(SKIP_1) | instid1(VALU_DEP_3)
	v_dual_sub_f32 v73, v32, v34 :: v_dual_sub_f32 v84, v81, v83
	v_dual_add_f32 v85, v77, v81 :: v_dual_add_f32 v36, v80, v36
	v_dual_add_f32 v32, v37, v34 :: v_dual_add_f32 v33, v71, v39
	v_fma_f32 v34, -0.5, v38, v74
	v_add_f32_e32 v81, v81, v83
	v_fma_f32 v35, -0.5, v72, v75
	v_fma_f32 v76, -0.5, v82, v76
	s_delay_alu instid0(VALU_DEP_4) | instskip(NEXT) | instid1(VALU_DEP_4)
	v_dual_add_f32 v37, v85, v83 :: v_dual_fmamk_f32 v38, v70, 0x3f5db3d7, v34
	v_dual_fmac_f32 v34, 0xbf5db3d7, v70 :: v_dual_fmac_f32 v77, -0.5, v81
	s_delay_alu instid0(VALU_DEP_3) | instskip(SKIP_2) | instid1(VALU_DEP_4)
	v_fmamk_f32 v70, v84, 0x3f5db3d7, v76
	v_dual_fmamk_f32 v39, v73, 0xbf5db3d7, v35 :: v_dual_fmac_f32 v76, 0xbf5db3d7, v84
	v_fmac_f32_e32 v35, 0x3f5db3d7, v73
	v_fmamk_f32 v71, v86, 0xbf5db3d7, v77
	v_fmac_f32_e32 v77, 0x3f5db3d7, v86
	ds_store_2addr_b64 v69, v[32:33], v[38:39] offset1:162
	ds_store_b64 v69, v[34:35] offset:2592
	ds_store_2addr_b64 v68, v[36:37], v[70:71] offset1:162
	ds_store_b64 v68, v[76:77] offset:2592
	s_waitcnt lgkmcnt(0)
	s_barrier
	buffer_gl0_inv
	s_clause 0x1
	global_load_b128 v[36:39], v78, s[10:11] offset:3840
	global_load_b128 v[32:35], v79, s[10:11] offset:3840
	ds_load_2addr_b64 v[70:73], v58 offset0:6 offset1:249
	ds_load_2addr_b64 v[74:77], v57 offset0:12 offset1:255
	ds_load_2addr_b64 v[78:81], v56 offset1:243
	s_waitcnt vmcnt(1) lgkmcnt(2)
	v_mul_f32_e32 v82, v71, v37
	s_waitcnt vmcnt(0) lgkmcnt(1)
	v_dual_mul_f32 v83, v70, v37 :: v_dual_mul_f32 v88, v77, v35
	v_mul_f32_e32 v86, v73, v33
	v_mul_f32_e32 v84, v75, v39
	v_fma_f32 v82, v70, v36, -v82
	v_mul_f32_e32 v87, v72, v33
	v_fmac_f32_e32 v83, v71, v36
	v_mul_f32_e32 v89, v76, v35
	v_fma_f32 v86, v72, v32, -v86
	v_fma_f32 v76, v76, v34, -v88
	v_fmac_f32_e32 v87, v73, v32
	v_fma_f32 v72, v74, v38, -v84
	v_fmac_f32_e32 v89, v77, v34
	s_waitcnt lgkmcnt(0)
	v_add_f32_e32 v73, v78, v82
	v_add_f32_e32 v88, v86, v76
	v_mul_f32_e32 v85, v74, v39
	v_add_f32_e32 v74, v82, v72
	v_sub_f32_e32 v90, v87, v89
	v_sub_f32_e32 v82, v82, v72
	v_add_co_u32 v70, vcc_lo, 0x2d90, v59
	v_fmac_f32_e32 v85, v75, v38
	v_fma_f32 v74, -0.5, v74, v78
	v_add_co_ci_u32_e32 v71, vcc_lo, 0, v60, vcc_lo
	s_delay_alu instid0(VALU_DEP_3) | instskip(NEXT) | instid1(VALU_DEP_1)
	v_sub_f32_e32 v84, v83, v85
	v_dual_fmamk_f32 v78, v84, 0x3f5db3d7, v74 :: v_dual_add_f32 v75, v79, v83
	v_add_f32_e32 v77, v83, v85
	v_dual_add_f32 v83, v80, v86 :: v_dual_fmac_f32 v74, 0xbf5db3d7, v84
	v_sub_f32_e32 v86, v86, v76
	v_fma_f32 v80, -0.5, v88, v80
	s_delay_alu instid0(VALU_DEP_3) | instskip(SKIP_2) | instid1(VALU_DEP_1)
	v_add_f32_e32 v76, v83, v76
	v_dual_add_f32 v72, v73, v72 :: v_dual_add_f32 v73, v75, v85
	v_fma_f32 v75, -0.5, v77, v79
	v_fmamk_f32 v79, v82, 0xbf5db3d7, v75
	v_dual_fmac_f32 v75, 0x3f5db3d7, v82 :: v_dual_fmamk_f32 v82, v90, 0x3f5db3d7, v80
	v_add_f32_e32 v85, v81, v87
	v_dual_add_f32 v87, v87, v89 :: v_dual_fmac_f32 v80, 0xbf5db3d7, v90
	s_delay_alu instid0(VALU_DEP_2) | instskip(NEXT) | instid1(VALU_DEP_2)
	v_add_f32_e32 v77, v85, v89
	v_fmac_f32_e32 v81, -0.5, v87
	s_delay_alu instid0(VALU_DEP_1)
	v_fmamk_f32 v83, v86, 0xbf5db3d7, v81
	v_fmac_f32_e32 v81, 0x3f5db3d7, v86
	ds_store_b64 v56, v[78:79] offset:3888
	ds_store_b64 v56, v[74:75] offset:7776
	ds_store_2addr_b64 v56, v[72:73], v[76:77] offset1:243
	ds_store_b64 v56, v[82:83] offset:5832
	ds_store_b64 v56, v[80:81] offset:9720
	s_waitcnt lgkmcnt(0)
	s_barrier
	buffer_gl0_inv
	s_clause 0x1
	global_load_b64 v[53:54], v[53:54], off offset:3472
	global_load_b64 v[74:75], v[70:71], off offset:1944
	v_add_co_u32 v72, vcc_lo, 0x4000, v59
	v_add_co_ci_u32_e32 v73, vcc_lo, 0, v60, vcc_lo
	global_load_b64 v[78:79], v[70:71], off offset:3888
	v_add_co_u32 v59, vcc_lo, 0x5000, v59
	v_add_co_ci_u32_e32 v60, vcc_lo, 0, v60, vcc_lo
	s_clause 0x2
	global_load_b64 v[80:81], v[72:73], off offset:1112
	global_load_b64 v[82:83], v[72:73], off offset:3056
	;; [unrolled: 1-line block ×3, first 2 shown]
	ds_load_2addr_b64 v[70:73], v56 offset1:243
	s_waitcnt vmcnt(5) lgkmcnt(0)
	v_mul_f32_e32 v77, v71, v54
	v_mul_f32_e32 v76, v70, v54
	s_waitcnt vmcnt(4)
	v_mul_f32_e32 v84, v73, v75
	v_mul_f32_e32 v54, v72, v75
	v_fma_f32 v75, v70, v53, -v77
	v_fmac_f32_e32 v76, v71, v53
	s_delay_alu instid0(VALU_DEP_4) | instskip(NEXT) | instid1(VALU_DEP_4)
	v_fma_f32 v53, v72, v74, -v84
	v_fmac_f32_e32 v54, v73, v74
	ds_store_2addr_b64 v56, v[75:76], v[53:54] offset1:243
	ds_load_2addr_b64 v[70:73], v58 offset0:6 offset1:249
	ds_load_2addr_b64 v[74:77], v57 offset0:12 offset1:255
	s_waitcnt vmcnt(3) lgkmcnt(1)
	v_mul_f32_e32 v53, v71, v79
	v_mul_f32_e32 v54, v70, v79
	s_waitcnt vmcnt(2)
	v_mul_f32_e32 v84, v73, v81
	v_mul_f32_e32 v79, v72, v81
	s_waitcnt vmcnt(1) lgkmcnt(0)
	v_mul_f32_e32 v85, v75, v83
	v_mul_f32_e32 v81, v74, v83
	v_fma_f32 v53, v70, v78, -v53
	s_waitcnt vmcnt(0)
	v_mul_f32_e32 v70, v77, v60
	v_dual_fmac_f32 v54, v71, v78 :: v_dual_mul_f32 v71, v76, v60
	v_fma_f32 v78, v72, v80, -v84
	v_fmac_f32_e32 v79, v73, v80
	v_fma_f32 v80, v74, v82, -v85
	v_fmac_f32_e32 v81, v75, v82
	v_fma_f32 v70, v76, v59, -v70
	v_fmac_f32_e32 v71, v77, v59
	ds_store_2addr_b64 v58, v[53:54], v[78:79] offset0:6 offset1:249
	ds_store_2addr_b64 v57, v[80:81], v[70:71] offset0:12 offset1:255
	s_waitcnt lgkmcnt(0)
	s_barrier
	buffer_gl0_inv
	ds_load_2addr_b64 v[70:73], v56 offset1:243
	ds_load_2addr_b64 v[74:77], v58 offset0:6 offset1:249
	ds_load_2addr_b64 v[78:81], v57 offset0:12 offset1:255
	s_waitcnt lgkmcnt(0)
	s_barrier
	buffer_gl0_inv
	v_add_f32_e32 v60, v71, v75
	v_add_f32_e32 v54, v74, v78
	;; [unrolled: 1-line block ×3, first 2 shown]
	v_sub_f32_e32 v84, v77, v81
	v_add_f32_e32 v85, v73, v77
	v_add_f32_e32 v53, v70, v74
	v_fma_f32 v54, -0.5, v54, v70
	v_dual_add_f32 v83, v76, v80 :: v_dual_sub_f32 v74, v74, v78
	v_add_f32_e32 v60, v60, v79
	v_sub_f32_e32 v76, v76, v80
	s_delay_alu instid0(VALU_DEP_3) | instskip(SKIP_2) | instid1(VALU_DEP_2)
	v_fma_f32 v72, -0.5, v83, v72
	v_sub_f32_e32 v59, v75, v79
	v_add_f32_e32 v75, v75, v79
	v_fmamk_f32 v79, v59, 0xbf5db3d7, v54
	s_delay_alu instid0(VALU_DEP_2) | instskip(SKIP_1) | instid1(VALU_DEP_2)
	v_fma_f32 v86, -0.5, v75, v71
	v_fmac_f32_e32 v54, 0x3f5db3d7, v59
	v_fmamk_f32 v59, v74, 0x3f5db3d7, v86
	v_fmac_f32_e32 v86, 0xbf5db3d7, v74
	v_dual_fmamk_f32 v74, v84, 0xbf5db3d7, v72 :: v_dual_add_f32 v77, v77, v81
	s_delay_alu instid0(VALU_DEP_1) | instskip(NEXT) | instid1(VALU_DEP_1)
	v_dual_fmac_f32 v72, 0x3f5db3d7, v84 :: v_dual_fmac_f32 v73, -0.5, v77
	v_fmamk_f32 v77, v76, 0x3f5db3d7, v73
	v_add_f32_e32 v53, v53, v78
	s_delay_alu instid0(VALU_DEP_2) | instskip(SKIP_1) | instid1(VALU_DEP_2)
	v_dual_add_f32 v75, v82, v80 :: v_dual_mul_f32 v82, 0.5, v77
	v_mul_f32_e32 v80, 0xbf5db3d7, v77
	v_dual_add_f32 v70, v53, v75 :: v_dual_fmac_f32 v73, 0xbf5db3d7, v76
	v_sub_f32_e32 v76, v53, v75
	s_delay_alu instid0(VALU_DEP_4) | instskip(NEXT) | instid1(VALU_DEP_4)
	v_fmac_f32_e32 v82, 0x3f5db3d7, v74
	v_fmac_f32_e32 v80, 0.5, v74
	v_add_f32_e32 v78, v85, v81
	v_mul_f32_e32 v81, 0xbf5db3d7, v73
	v_mul_f32_e32 v83, -0.5, v73
	s_delay_alu instid0(VALU_DEP_3) | instskip(NEXT) | instid1(VALU_DEP_3)
	v_add_f32_e32 v71, v60, v78
	v_fmac_f32_e32 v81, -0.5, v72
	s_delay_alu instid0(VALU_DEP_3) | instskip(SKIP_2) | instid1(VALU_DEP_4)
	v_fmac_f32_e32 v83, 0x3f5db3d7, v72
	v_add_f32_e32 v72, v79, v80
	v_add_f32_e32 v73, v59, v82
	v_dual_sub_f32 v77, v60, v78 :: v_dual_add_f32 v74, v54, v81
	s_delay_alu instid0(VALU_DEP_4)
	v_dual_add_f32 v75, v86, v83 :: v_dual_sub_f32 v78, v79, v80
	v_dual_sub_f32 v80, v54, v81 :: v_dual_sub_f32 v79, v59, v82
	v_sub_f32_e32 v81, v86, v83
	ds_store_b128 v61, v[70:73]
	ds_store_b128 v61, v[74:77] offset:16
	ds_store_b128 v61, v[78:81] offset:32
	s_waitcnt lgkmcnt(0)
	s_barrier
	buffer_gl0_inv
	ds_load_2addr_b64 v[70:73], v58 offset0:6 offset1:249
	ds_load_2addr_b64 v[74:77], v57 offset0:12 offset1:255
	ds_load_2addr_b64 v[78:81], v56 offset1:243
	s_waitcnt lgkmcnt(0)
	s_barrier
	buffer_gl0_inv
	v_mul_f32_e32 v59, v1, v73
	v_dual_mul_f32 v60, v3, v77 :: v_dual_mul_f32 v53, v5, v71
	v_dual_mul_f32 v5, v5, v70 :: v_dual_mul_f32 v54, v7, v75
	s_delay_alu instid0(VALU_DEP_3) | instskip(NEXT) | instid1(VALU_DEP_3)
	v_fmac_f32_e32 v59, v0, v72
	v_fmac_f32_e32 v60, v2, v76
	v_mul_f32_e32 v3, v3, v76
	v_fmac_f32_e32 v53, v4, v70
	v_fma_f32 v4, v4, v71, -v5
	v_add_f32_e32 v61, v80, v59
	v_mul_f32_e32 v7, v7, v74
	v_add_f32_e32 v70, v59, v60
	v_sub_f32_e32 v59, v59, v60
	v_dual_mul_f32 v1, v1, v72 :: v_dual_fmac_f32 v54, v6, v74
	s_delay_alu instid0(VALU_DEP_4) | instskip(SKIP_2) | instid1(VALU_DEP_4)
	v_fma_f32 v5, v6, v75, -v7
	v_fma_f32 v6, v2, v77, -v3
	v_add_f32_e32 v3, v79, v4
	v_fma_f32 v0, v0, v73, -v1
	v_dual_add_f32 v1, v78, v53 :: v_dual_add_f32 v2, v53, v54
	v_sub_f32_e32 v7, v4, v5
	v_add_f32_e32 v4, v4, v5
	s_delay_alu instid0(VALU_DEP_4)
	v_add_f32_e32 v73, v0, v6
	v_sub_f32_e32 v53, v53, v54
	v_dual_sub_f32 v71, v0, v6 :: v_dual_add_f32 v72, v81, v0
	v_add_f32_e32 v0, v1, v54
	v_fma_f32 v2, -0.5, v2, v78
	v_add_f32_e32 v1, v3, v5
	v_fma_f32 v3, -0.5, v4, v79
	v_fma_f32 v80, -0.5, v70, v80
	v_fmac_f32_e32 v81, -0.5, v73
	v_dual_add_f32 v5, v72, v6 :: v_dual_fmamk_f32 v6, v7, 0xbf5db3d7, v2
	s_delay_alu instid0(VALU_DEP_4)
	v_dual_fmac_f32 v2, 0x3f5db3d7, v7 :: v_dual_fmamk_f32 v7, v53, 0x3f5db3d7, v3
	v_dual_fmac_f32 v3, 0xbf5db3d7, v53 :: v_dual_add_f32 v4, v61, v60
	v_fmamk_f32 v53, v71, 0xbf5db3d7, v80
	v_fmamk_f32 v54, v59, 0x3f5db3d7, v81
	v_fmac_f32_e32 v80, 0x3f5db3d7, v71
	v_fmac_f32_e32 v81, 0xbf5db3d7, v59
	ds_store_2addr_b64 v63, v[0:1], v[6:7] offset1:6
	ds_store_b64 v63, v[2:3] offset:96
	ds_store_2addr_b64 v62, v[4:5], v[53:54] offset1:6
	ds_store_b64 v62, v[80:81] offset:96
	s_waitcnt lgkmcnt(0)
	s_barrier
	buffer_gl0_inv
	ds_load_2addr_b64 v[0:3], v58 offset0:6 offset1:249
	ds_load_2addr_b64 v[4:7], v57 offset0:12 offset1:255
	ds_load_2addr_b64 v[59:62], v56 offset1:243
	s_waitcnt lgkmcnt(0)
	s_barrier
	buffer_gl0_inv
	v_mul_f32_e32 v53, v13, v1
	v_dual_mul_f32 v13, v13, v0 :: v_dual_mul_f32 v54, v15, v5
	v_mul_f32_e32 v15, v15, v4
	v_mul_f32_e32 v63, v9, v3
	v_dual_mul_f32 v9, v9, v2 :: v_dual_mul_f32 v70, v11, v7
	v_mul_f32_e32 v11, v11, v6
	v_fmac_f32_e32 v53, v12, v0
	v_fma_f32 v0, v12, v1, -v13
	v_fmac_f32_e32 v54, v14, v4
	v_fma_f32 v1, v14, v5, -v15
	;; [unrolled: 2-line block ×4, first 2 shown]
	v_dual_add_f32 v3, v59, v53 :: v_dual_add_f32 v4, v53, v54
	s_delay_alu instid0(VALU_DEP_3) | instskip(NEXT) | instid1(VALU_DEP_3)
	v_dual_add_f32 v8, v0, v1 :: v_dual_add_f32 v11, v63, v70
	v_add_f32_e32 v14, v2, v5
	v_sub_f32_e32 v7, v0, v1
	v_dual_add_f32 v6, v60, v0 :: v_dual_sub_f32 v9, v53, v54
	v_sub_f32_e32 v12, v2, v5
	v_add_f32_e32 v13, v62, v2
	v_add_f32_e32 v0, v3, v54
	v_fma_f32 v2, -0.5, v4, v59
	v_fma_f32 v3, -0.5, v8, v60
	v_dual_add_f32 v10, v61, v63 :: v_dual_sub_f32 v15, v63, v70
	v_fma_f32 v61, -0.5, v11, v61
	v_dual_fmac_f32 v62, -0.5, v14 :: v_dual_add_f32 v1, v6, v1
	v_fmamk_f32 v6, v7, 0xbf5db3d7, v2
	v_dual_fmac_f32 v2, 0x3f5db3d7, v7 :: v_dual_fmamk_f32 v7, v9, 0x3f5db3d7, v3
	v_dual_fmac_f32 v3, 0xbf5db3d7, v9 :: v_dual_add_f32 v4, v10, v70
	v_dual_add_f32 v5, v13, v5 :: v_dual_fmamk_f32 v8, v12, 0xbf5db3d7, v61
	v_fmamk_f32 v9, v15, 0x3f5db3d7, v62
	v_fmac_f32_e32 v61, 0x3f5db3d7, v12
	v_fmac_f32_e32 v62, 0xbf5db3d7, v15
	ds_store_2addr_b64 v65, v[0:1], v[6:7] offset1:18
	ds_store_b64 v65, v[2:3] offset:288
	ds_store_2addr_b64 v64, v[4:5], v[8:9] offset1:18
	ds_store_b64 v64, v[61:62] offset:288
	s_waitcnt lgkmcnt(0)
	s_barrier
	buffer_gl0_inv
	ds_load_2addr_b64 v[0:3], v58 offset0:6 offset1:249
	ds_load_2addr_b64 v[4:7], v57 offset0:12 offset1:255
	ds_load_2addr_b64 v[8:11], v56 offset1:243
	s_waitcnt lgkmcnt(0)
	s_barrier
	buffer_gl0_inv
	v_mul_f32_e32 v12, v21, v1
	v_dual_mul_f32 v13, v21, v0 :: v_dual_mul_f32 v14, v23, v5
	v_mul_f32_e32 v15, v23, v4
	v_mul_f32_e32 v21, v17, v3
	;; [unrolled: 1-line block ×4, first 2 shown]
	v_dual_mul_f32 v19, v19, v6 :: v_dual_fmac_f32 v12, v20, v0
	v_fma_f32 v0, v20, v1, -v13
	v_fmac_f32_e32 v14, v22, v4
	v_fma_f32 v1, v22, v5, -v15
	v_fmac_f32_e32 v21, v16, v2
	;; [unrolled: 2-line block ×3, first 2 shown]
	v_fma_f32 v5, v18, v7, -v19
	v_add_f32_e32 v3, v8, v12
	v_add_f32_e32 v4, v12, v14
	s_delay_alu instid0(VALU_DEP_4) | instskip(NEXT) | instid1(VALU_DEP_4)
	v_dual_add_f32 v13, v0, v1 :: v_dual_add_f32 v16, v21, v23
	v_add_f32_e32 v19, v2, v5
	v_dual_sub_f32 v7, v0, v1 :: v_dual_add_f32 v6, v9, v0
	v_dual_sub_f32 v12, v12, v14 :: v_dual_sub_f32 v17, v2, v5
	v_add_f32_e32 v18, v11, v2
	v_add_f32_e32 v0, v3, v14
	v_fma_f32 v2, -0.5, v4, v8
	v_fma_f32 v3, -0.5, v13, v9
	v_dual_add_f32 v15, v10, v21 :: v_dual_sub_f32 v20, v21, v23
	v_fma_f32 v10, -0.5, v16, v10
	v_fmac_f32_e32 v11, -0.5, v19
	v_dual_add_f32 v1, v6, v1 :: v_dual_fmamk_f32 v6, v7, 0xbf5db3d7, v2
	v_dual_fmac_f32 v2, 0x3f5db3d7, v7 :: v_dual_fmamk_f32 v7, v12, 0x3f5db3d7, v3
	v_dual_fmac_f32 v3, 0xbf5db3d7, v12 :: v_dual_add_f32 v4, v15, v23
	v_dual_add_f32 v5, v18, v5 :: v_dual_fmamk_f32 v8, v17, 0xbf5db3d7, v10
	v_dual_fmamk_f32 v9, v20, 0x3f5db3d7, v11 :: v_dual_fmac_f32 v10, 0x3f5db3d7, v17
	v_fmac_f32_e32 v11, 0xbf5db3d7, v20
	ds_store_2addr_b64 v67, v[0:1], v[6:7] offset1:54
	ds_store_b64 v67, v[2:3] offset:864
	ds_store_2addr_b64 v66, v[4:5], v[8:9] offset1:54
	ds_store_b64 v66, v[10:11] offset:864
	s_waitcnt lgkmcnt(0)
	s_barrier
	buffer_gl0_inv
	ds_load_2addr_b64 v[0:3], v58 offset0:6 offset1:249
	ds_load_2addr_b64 v[4:7], v57 offset0:12 offset1:255
	ds_load_2addr_b64 v[8:11], v56 offset1:243
	s_waitcnt lgkmcnt(0)
	s_barrier
	buffer_gl0_inv
	v_mul_f32_e32 v12, v29, v1
	v_dual_mul_f32 v13, v29, v0 :: v_dual_mul_f32 v14, v31, v5
	v_dual_mul_f32 v15, v31, v4 :: v_dual_mul_f32 v16, v25, v3
	;; [unrolled: 1-line block ×3, first 2 shown]
	s_delay_alu instid0(VALU_DEP_4) | instskip(NEXT) | instid1(VALU_DEP_4)
	v_dual_mul_f32 v19, v27, v6 :: v_dual_fmac_f32 v12, v28, v0
	v_fma_f32 v0, v28, v1, -v13
	v_fmac_f32_e32 v14, v30, v4
	v_fma_f32 v1, v30, v5, -v15
	v_fmac_f32_e32 v16, v24, v2
	;; [unrolled: 2-line block ×3, first 2 shown]
	v_fma_f32 v5, v26, v7, -v19
	v_add_f32_e32 v3, v8, v12
	v_add_f32_e32 v4, v12, v14
	;; [unrolled: 1-line block ×5, first 2 shown]
	v_dual_sub_f32 v7, v0, v1 :: v_dual_add_f32 v6, v9, v0
	v_dual_sub_f32 v12, v12, v14 :: v_dual_sub_f32 v19, v2, v5
	v_add_f32_e32 v20, v11, v2
	v_add_f32_e32 v0, v3, v14
	v_fma_f32 v2, -0.5, v4, v8
	v_fma_f32 v3, -0.5, v13, v9
	v_dual_add_f32 v15, v10, v16 :: v_dual_sub_f32 v16, v16, v18
	v_fma_f32 v10, -0.5, v17, v10
	v_fmac_f32_e32 v11, -0.5, v21
	v_dual_add_f32 v1, v6, v1 :: v_dual_fmamk_f32 v6, v7, 0xbf5db3d7, v2
	v_dual_fmac_f32 v2, 0x3f5db3d7, v7 :: v_dual_fmamk_f32 v7, v12, 0x3f5db3d7, v3
	v_dual_fmac_f32 v3, 0xbf5db3d7, v12 :: v_dual_add_f32 v4, v15, v18
	v_dual_add_f32 v5, v20, v5 :: v_dual_fmamk_f32 v8, v19, 0xbf5db3d7, v10
	v_dual_fmamk_f32 v9, v16, 0x3f5db3d7, v11 :: v_dual_fmac_f32 v10, 0x3f5db3d7, v19
	v_fmac_f32_e32 v11, 0xbf5db3d7, v16
	ds_store_2addr_b64 v69, v[0:1], v[6:7] offset1:162
	ds_store_b64 v69, v[2:3] offset:2592
	ds_store_2addr_b64 v68, v[4:5], v[8:9] offset1:162
	ds_store_b64 v68, v[10:11] offset:2592
	s_waitcnt lgkmcnt(0)
	s_barrier
	buffer_gl0_inv
	ds_load_2addr_b64 v[0:3], v58 offset0:6 offset1:249
	ds_load_2addr_b64 v[4:7], v57 offset0:12 offset1:255
	ds_load_2addr_b64 v[8:11], v56 offset1:243
	v_mad_u64_u32 v[24:25], null, s6, v40, 0
	v_mad_u64_u32 v[26:27], null, s4, v55, 0
	s_delay_alu instid0(VALU_DEP_1)
	v_mad_u64_u32 v[28:29], null, s7, v40, v[25:26]
	s_waitcnt lgkmcnt(2)
	v_mul_f32_e32 v12, v37, v1
	s_waitcnt lgkmcnt(1)
	v_dual_mul_f32 v13, v37, v0 :: v_dual_mul_f32 v14, v39, v5
	v_dual_mul_f32 v15, v39, v4 :: v_dual_mul_f32 v16, v33, v3
	v_dual_mul_f32 v17, v33, v2 :: v_dual_mul_f32 v18, v35, v7
	v_dual_mul_f32 v19, v35, v6 :: v_dual_fmac_f32 v12, v36, v0
	s_delay_alu instid0(VALU_DEP_4)
	v_fma_f32 v0, v36, v1, -v13
	v_fmac_f32_e32 v14, v38, v4
	v_fma_f32 v1, v38, v5, -v15
	v_fmac_f32_e32 v16, v32, v2
	;; [unrolled: 2-line block ×3, first 2 shown]
	v_fma_f32 v5, v34, v7, -v19
	s_waitcnt lgkmcnt(0)
	v_add_f32_e32 v3, v8, v12
	v_add_f32_e32 v4, v12, v14
	;; [unrolled: 1-line block ×5, first 2 shown]
	v_dual_sub_f32 v7, v0, v1 :: v_dual_add_f32 v6, v9, v0
	v_dual_sub_f32 v12, v12, v14 :: v_dual_sub_f32 v19, v2, v5
	v_add_f32_e32 v20, v11, v2
	v_add_f32_e32 v0, v3, v14
	v_fma_f32 v2, -0.5, v4, v8
	v_fma_f32 v3, -0.5, v13, v9
	v_dual_add_f32 v15, v10, v16 :: v_dual_sub_f32 v16, v16, v18
	v_fma_f32 v10, -0.5, v17, v10
	v_fmac_f32_e32 v11, -0.5, v21
	v_dual_add_f32 v1, v6, v1 :: v_dual_fmamk_f32 v6, v7, 0xbf5db3d7, v2
	v_dual_fmac_f32 v2, 0x3f5db3d7, v7 :: v_dual_fmamk_f32 v7, v12, 0x3f5db3d7, v3
	v_dual_fmac_f32 v3, 0xbf5db3d7, v12 :: v_dual_add_f32 v4, v15, v18
	v_dual_add_f32 v5, v20, v5 :: v_dual_fmamk_f32 v8, v19, 0xbf5db3d7, v10
	v_dual_fmamk_f32 v9, v16, 0x3f5db3d7, v11 :: v_dual_fmac_f32 v10, 0x3f5db3d7, v19
	v_fmac_f32_e32 v11, 0xbf5db3d7, v16
	ds_store_b64 v56, v[6:7] offset:3888
	ds_store_b64 v56, v[2:3] offset:7776
	ds_store_2addr_b64 v56, v[0:1], v[4:5] offset1:243
	ds_store_b64 v56, v[8:9] offset:5832
	ds_store_b64 v56, v[10:11] offset:9720
	s_waitcnt lgkmcnt(0)
	s_barrier
	buffer_gl0_inv
	ds_load_2addr_b64 v[0:3], v56 offset1:243
	ds_load_2addr_b64 v[4:7], v58 offset0:6 offset1:249
	ds_load_2addr_b64 v[8:11], v57 offset0:12 offset1:255
	v_mad_u64_u32 v[29:30], null, s5, v55, v[27:28]
	v_mov_b32_e32 v25, v28
	s_delay_alu instid0(VALU_DEP_1) | instskip(NEXT) | instid1(VALU_DEP_3)
	v_lshlrev_b64 v[24:25], 3, v[24:25]
	v_mov_b32_e32 v27, v29
	s_delay_alu instid0(VALU_DEP_1)
	v_lshlrev_b64 v[26:27], 3, v[26:27]
	s_waitcnt lgkmcnt(2)
	v_mul_f32_e32 v12, v42, v1
	v_dual_mul_f32 v13, v42, v0 :: v_dual_mul_f32 v14, v44, v3
	s_waitcnt lgkmcnt(1)
	v_dual_mul_f32 v15, v44, v2 :: v_dual_mul_f32 v16, v46, v5
	v_dual_mul_f32 v17, v46, v4 :: v_dual_mul_f32 v18, v48, v7
	s_waitcnt lgkmcnt(0)
	v_dual_mul_f32 v19, v48, v6 :: v_dual_mul_f32 v20, v50, v9
	v_dual_mul_f32 v21, v50, v8 :: v_dual_mul_f32 v22, v52, v11
	v_dual_mul_f32 v23, v52, v10 :: v_dual_fmac_f32 v12, v41, v0
	s_delay_alu instid0(VALU_DEP_3)
	v_fmac_f32_e32 v20, v49, v8
	v_fma_f32 v13, v41, v1, -v13
	v_fmac_f32_e32 v14, v43, v2
	v_fma_f32 v15, v43, v3, -v15
	;; [unrolled: 2-line block ×4, first 2 shown]
	v_fma_f32 v21, v49, v9, -v21
	v_fmac_f32_e32 v22, v51, v10
	v_fma_f32 v23, v51, v11, -v23
	v_cvt_f64_f32_e32 v[0:1], v12
	v_cvt_f64_f32_e32 v[2:3], v13
	;; [unrolled: 1-line block ×12, first 2 shown]
	v_mul_f64 v[0:1], v[0:1], s[2:3]
	v_mul_f64 v[2:3], v[2:3], s[2:3]
	;; [unrolled: 1-line block ×12, first 2 shown]
	s_mul_i32 s2, s5, 0x798
	s_mul_hi_u32 s3, s4, 0x798
	s_delay_alu instid0(SALU_CYCLE_1)
	s_add_i32 s3, s3, s2
	v_cvt_f32_f64_e32 v0, v[0:1]
	v_cvt_f32_f64_e32 v1, v[2:3]
	;; [unrolled: 1-line block ×12, first 2 shown]
	v_add_co_u32 v12, vcc_lo, s0, v24
	v_add_co_ci_u32_e32 v13, vcc_lo, s1, v25, vcc_lo
	s_mul_i32 s0, s4, 0x798
	s_delay_alu instid0(VALU_DEP_2) | instskip(NEXT) | instid1(VALU_DEP_2)
	v_add_co_u32 v12, vcc_lo, v12, v26
	v_add_co_ci_u32_e32 v13, vcc_lo, v13, v27, vcc_lo
	s_delay_alu instid0(VALU_DEP_2) | instskip(NEXT) | instid1(VALU_DEP_2)
	v_add_co_u32 v14, vcc_lo, v12, s0
	v_add_co_ci_u32_e32 v15, vcc_lo, s3, v13, vcc_lo
	;; [unrolled: 3-line block ×6, first 2 shown]
	s_clause 0x4
	global_store_b64 v[12:13], v[0:1], off
	global_store_b64 v[14:15], v[2:3], off
	;; [unrolled: 1-line block ×6, first 2 shown]
.LBB0_2:
	s_nop 0
	s_sendmsg sendmsg(MSG_DEALLOC_VGPRS)
	s_endpgm
	.section	.rodata,"a",@progbits
	.p2align	6, 0x0
	.amdhsa_kernel bluestein_single_fwd_len1458_dim1_sp_op_CI_CI
		.amdhsa_group_segment_fixed_size 11664
		.amdhsa_private_segment_fixed_size 0
		.amdhsa_kernarg_size 104
		.amdhsa_user_sgpr_count 15
		.amdhsa_user_sgpr_dispatch_ptr 0
		.amdhsa_user_sgpr_queue_ptr 0
		.amdhsa_user_sgpr_kernarg_segment_ptr 1
		.amdhsa_user_sgpr_dispatch_id 0
		.amdhsa_user_sgpr_private_segment_size 0
		.amdhsa_wavefront_size32 1
		.amdhsa_uses_dynamic_stack 0
		.amdhsa_enable_private_segment 0
		.amdhsa_system_sgpr_workgroup_id_x 1
		.amdhsa_system_sgpr_workgroup_id_y 0
		.amdhsa_system_sgpr_workgroup_id_z 0
		.amdhsa_system_sgpr_workgroup_info 0
		.amdhsa_system_vgpr_workitem_id 0
		.amdhsa_next_free_vgpr 91
		.amdhsa_next_free_sgpr 20
		.amdhsa_reserve_vcc 1
		.amdhsa_float_round_mode_32 0
		.amdhsa_float_round_mode_16_64 0
		.amdhsa_float_denorm_mode_32 3
		.amdhsa_float_denorm_mode_16_64 3
		.amdhsa_dx10_clamp 1
		.amdhsa_ieee_mode 1
		.amdhsa_fp16_overflow 0
		.amdhsa_workgroup_processor_mode 1
		.amdhsa_memory_ordered 1
		.amdhsa_forward_progress 0
		.amdhsa_shared_vgpr_count 0
		.amdhsa_exception_fp_ieee_invalid_op 0
		.amdhsa_exception_fp_denorm_src 0
		.amdhsa_exception_fp_ieee_div_zero 0
		.amdhsa_exception_fp_ieee_overflow 0
		.amdhsa_exception_fp_ieee_underflow 0
		.amdhsa_exception_fp_ieee_inexact 0
		.amdhsa_exception_int_div_zero 0
	.end_amdhsa_kernel
	.text
.Lfunc_end0:
	.size	bluestein_single_fwd_len1458_dim1_sp_op_CI_CI, .Lfunc_end0-bluestein_single_fwd_len1458_dim1_sp_op_CI_CI
                                        ; -- End function
	.section	.AMDGPU.csdata,"",@progbits
; Kernel info:
; codeLenInByte = 6516
; NumSgprs: 22
; NumVgprs: 91
; ScratchSize: 0
; MemoryBound: 0
; FloatMode: 240
; IeeeMode: 1
; LDSByteSize: 11664 bytes/workgroup (compile time only)
; SGPRBlocks: 2
; VGPRBlocks: 11
; NumSGPRsForWavesPerEU: 22
; NumVGPRsForWavesPerEU: 91
; Occupancy: 16
; WaveLimiterHint : 1
; COMPUTE_PGM_RSRC2:SCRATCH_EN: 0
; COMPUTE_PGM_RSRC2:USER_SGPR: 15
; COMPUTE_PGM_RSRC2:TRAP_HANDLER: 0
; COMPUTE_PGM_RSRC2:TGID_X_EN: 1
; COMPUTE_PGM_RSRC2:TGID_Y_EN: 0
; COMPUTE_PGM_RSRC2:TGID_Z_EN: 0
; COMPUTE_PGM_RSRC2:TIDIG_COMP_CNT: 0
	.text
	.p2alignl 7, 3214868480
	.fill 96, 4, 3214868480
	.type	__hip_cuid_c1b1f9faf1a62aa,@object ; @__hip_cuid_c1b1f9faf1a62aa
	.section	.bss,"aw",@nobits
	.globl	__hip_cuid_c1b1f9faf1a62aa
__hip_cuid_c1b1f9faf1a62aa:
	.byte	0                               ; 0x0
	.size	__hip_cuid_c1b1f9faf1a62aa, 1

	.ident	"AMD clang version 19.0.0git (https://github.com/RadeonOpenCompute/llvm-project roc-6.4.0 25133 c7fe45cf4b819c5991fe208aaa96edf142730f1d)"
	.section	".note.GNU-stack","",@progbits
	.addrsig
	.addrsig_sym __hip_cuid_c1b1f9faf1a62aa
	.amdgpu_metadata
---
amdhsa.kernels:
  - .args:
      - .actual_access:  read_only
        .address_space:  global
        .offset:         0
        .size:           8
        .value_kind:     global_buffer
      - .actual_access:  read_only
        .address_space:  global
        .offset:         8
        .size:           8
        .value_kind:     global_buffer
      - .actual_access:  read_only
        .address_space:  global
        .offset:         16
        .size:           8
        .value_kind:     global_buffer
      - .actual_access:  read_only
        .address_space:  global
        .offset:         24
        .size:           8
        .value_kind:     global_buffer
      - .actual_access:  read_only
        .address_space:  global
        .offset:         32
        .size:           8
        .value_kind:     global_buffer
      - .offset:         40
        .size:           8
        .value_kind:     by_value
      - .address_space:  global
        .offset:         48
        .size:           8
        .value_kind:     global_buffer
      - .address_space:  global
        .offset:         56
        .size:           8
        .value_kind:     global_buffer
      - .address_space:  global
        .offset:         64
        .size:           8
        .value_kind:     global_buffer
      - .address_space:  global
        .offset:         72
        .size:           8
        .value_kind:     global_buffer
      - .offset:         80
        .size:           4
        .value_kind:     by_value
      - .address_space:  global
        .offset:         88
        .size:           8
        .value_kind:     global_buffer
      - .address_space:  global
        .offset:         96
        .size:           8
        .value_kind:     global_buffer
    .group_segment_fixed_size: 11664
    .kernarg_segment_align: 8
    .kernarg_segment_size: 104
    .language:       OpenCL C
    .language_version:
      - 2
      - 0
    .max_flat_workgroup_size: 243
    .name:           bluestein_single_fwd_len1458_dim1_sp_op_CI_CI
    .private_segment_fixed_size: 0
    .sgpr_count:     22
    .sgpr_spill_count: 0
    .symbol:         bluestein_single_fwd_len1458_dim1_sp_op_CI_CI.kd
    .uniform_work_group_size: 1
    .uses_dynamic_stack: false
    .vgpr_count:     91
    .vgpr_spill_count: 0
    .wavefront_size: 32
    .workgroup_processor_mode: 1
amdhsa.target:   amdgcn-amd-amdhsa--gfx1100
amdhsa.version:
  - 1
  - 2
...

	.end_amdgpu_metadata
